;; amdgpu-corpus repo=zjin-lcf/HeCBench kind=compiled arch=gfx906 opt=O3
	.amdgcn_target "amdgcn-amd-amdhsa--gfx906"
	.amdhsa_code_object_version 6
	.text
	.protected	_Z14lstm_inferencePKfS0_S0_S0_S0_S0_Pf ; -- Begin function _Z14lstm_inferencePKfS0_S0_S0_S0_S0_Pf
	.globl	_Z14lstm_inferencePKfS0_S0_S0_S0_S0_Pf
	.p2align	8
	.type	_Z14lstm_inferencePKfS0_S0_S0_S0_S0_Pf,@function
_Z14lstm_inferencePKfS0_S0_S0_S0_S0_Pf: ; @_Z14lstm_inferencePKfS0_S0_S0_S0_S0_Pf
; %bb.0:
	s_load_dword s0, s[4:5], 0x44
	s_waitcnt lgkmcnt(0)
	s_and_b32 s0, s0, 0xffff
	s_mul_i32 s6, s6, s0
	v_add_u32_e32 v0, s6, v0
	s_movk_i32 s0, 0x2000
	v_cmp_gt_i32_e32 vcc, s0, v0
	s_and_saveexec_b64 s[0:1], vcc
	s_cbranch_execz .LBB0_43
; %bb.1:
	s_load_dwordx4 s[0:3], s[4:5], 0x20
	s_load_dwordx8 s[24:31], s[4:5], 0x0
	s_load_dwordx2 s[20:21], s[4:5], 0x30
	s_movk_i32 s4, 0x4e20
	v_mul_lo_u32 v0, v0, s4
	s_waitcnt lgkmcnt(0)
	s_load_dword s4, s[2:3], 0x0
                                        ; implicit-def: $vgpr39 : SGPR spill to VGPR lane
                                        ; implicit-def: $vgpr38 : SGPR spill to VGPR lane
	v_mov_b32_e32 v9, 0
	v_mov_b32_e32 v4, s21
	v_ashrrev_i32_e32 v1, 31, v0
	v_lshlrev_b64 v[2:3], 2, v[0:1]
	s_waitcnt lgkmcnt(0)
	v_writelane_b32 v39, s4, 0
	s_load_dwordx16 s[4:19], s[26:27], 0x0
	s_load_dwordx4 s[84:87], s[26:27], 0x40
	s_load_dwordx4 s[88:91], s[30:31], 0x40
	;; [unrolled: 1-line block ×3, first 2 shown]
	v_mov_b32_e32 v1, s25
	v_add_co_u32_e32 v0, vcc, s24, v2
	v_addc_co_u32_e32 v1, vcc, v1, v3, vcc
	s_waitcnt lgkmcnt(0)
	v_writelane_b32 v39, s40, 1
	v_writelane_b32 v39, s41, 2
	v_writelane_b32 v39, s42, 3
	v_writelane_b32 v39, s43, 4
	s_load_dwordx4 s[40:43], s[0:1], 0x0
	v_add_co_u32_e32 v2, vcc, s20, v2
	s_load_dword s0, s[0:1], 0x10
	v_addc_co_u32_e32 v3, vcc, v4, v3, vcc
	s_waitcnt lgkmcnt(0)
	v_writelane_b32 v39, s40, 5
	v_writelane_b32 v39, s41, 6
	;; [unrolled: 1-line block ×4, first 2 shown]
	s_load_dwordx16 s[36:51], s[28:29], 0x0
	v_writelane_b32 v39, s0, 9
	s_mov_b64 s[34:35], 0
	s_mov_b32 s93, 0x3f200000
	v_mov_b32_e32 v4, 0xbd5c1c4e
	s_waitcnt lgkmcnt(0)
	v_writelane_b32 v39, s36, 10
	v_writelane_b32 v39, s37, 11
	;; [unrolled: 1-line block ×16, first 2 shown]
	s_load_dwordx16 s[36:51], s[30:31], 0x0
	s_load_dwordx16 s[52:67], s[28:29], 0x40
	v_mov_b32_e32 v5, 0x3e088382
	v_mov_b32_e32 v6, 0xbeaaaa99
	s_brev_b32 s33, -2
	s_mov_b32 s94, 0xbfb8aa3b
	s_waitcnt lgkmcnt(0)
	v_writelane_b32 v39, s52, 26
	v_writelane_b32 v39, s53, 27
	;; [unrolled: 1-line block ×16, first 2 shown]
	s_load_dwordx16 s[52:67], s[28:29], 0x80
	s_mov_b32 s95, 0x42ce8ed0
	s_mov_b32 s92, 0xc2b17218
	v_mov_b32_e32 v7, 0x7f800000
	v_mov_b32_e32 v10, 0
	s_waitcnt lgkmcnt(0)
	v_writelane_b32 v39, s52, 42
	v_writelane_b32 v39, s53, 43
	;; [unrolled: 1-line block ×16, first 2 shown]
	s_load_dwordx16 s[52:67], s[28:29], 0xc0
	v_mov_b32_e32 v11, 0
	v_mov_b32_e32 v12, 0
	;; [unrolled: 1-line block ×4, first 2 shown]
	s_waitcnt lgkmcnt(0)
	v_writelane_b32 v39, s52, 58
	v_writelane_b32 v38, s58, 0
	;; [unrolled: 1-line block ×16, first 2 shown]
	s_load_dwordx16 s[52:67], s[28:29], 0x100
	s_load_dwordx16 s[68:83], s[28:29], 0x140
	v_mov_b32_e32 v22, 0
	v_mov_b32_e32 v20, 0
	;; [unrolled: 1-line block ×4, first 2 shown]
	s_waitcnt lgkmcnt(0)
	v_writelane_b32 v38, s68, 10
	v_writelane_b32 v38, s69, 11
	;; [unrolled: 1-line block ×47, first 2 shown]
                                        ; kill: killed $sgpr26_sgpr27
                                        ; kill: killed $sgpr2_sgpr3
	v_writelane_b32 v38, s51, 57
	s_branch .LBB0_3
.LBB0_2:                                ;   in Loop: Header=BB0_3 Depth=1
	s_or_b64 exec, exec, s[0:1]
	v_readlane_b32 s4, v38, 26
	v_mul_f32_e32 v19, s53, v9
	v_readlane_b32 s17, v38, 39
	v_fmac_f32_e32 v19, s17, v13
	v_fmac_f32_e32 v19, s54, v10
	;; [unrolled: 1-line block ×4, first 2 shown]
	v_readlane_b32 s36, v38, 42
	v_fmac_f32_e32 v19, s57, v8
	v_readlane_b32 s49, v38, 55
	v_add_f32_e32 v19, s49, v19
	v_mul_f32_e32 v24, 0xbfb8aa3b, v19
	v_fma_f32 v26, v19, s94, -v24
	v_rndne_f32_e32 v27, v24
	v_fmac_f32_e32 v26, 0xb2a5705f, v19
	v_sub_f32_e32 v24, v24, v27
	v_add_f32_e32 v24, v24, v26
	v_cvt_i32_f32_e32 v26, v27
	v_exp_f32_e32 v24, v24
	s_mov_b64 s[82:83], s[66:67]
	v_cmp_nlt_f32_e32 vcc, s95, v19
	s_mov_b64 s[80:81], s[64:65]
	v_ldexp_f32 v24, v24, v26
	s_mov_b64 s[78:79], s[62:63]
	s_mov_b64 s[76:77], s[60:61]
	;; [unrolled: 1-line block ×6, first 2 shown]
	v_readlane_b32 s52, v39, 58
	v_cndmask_b32_e32 v24, 0, v24, vcc
	v_cmp_ngt_f32_e32 vcc, s92, v19
	v_readlane_b32 s64, v38, 6
	v_readlane_b32 s16, v38, 38
	v_cndmask_b32_e32 v19, v7, v24, vcc
	v_mul_f32_e32 v24, s64, v9
	v_readlane_b32 s65, v38, 7
	v_fmac_f32_e32 v24, s16, v13
	v_readlane_b32 s66, v38, 8
	v_fmac_f32_e32 v24, s65, v10
	;; [unrolled: 2-line block ×3, first 2 shown]
	v_fmac_f32_e32 v24, s67, v12
	v_readlane_b32 s48, v38, 54
	v_fmac_f32_e32 v24, s68, v8
	v_add_f32_e32 v19, 1.0, v19
	v_add_f32_e32 v24, s48, v24
	v_div_scale_f32 v27, s[0:1], v19, v19, 1.0
	v_mul_f32_e32 v26, 0xbfb8aa3b, v24
	v_fma_f32 v28, v24, s94, -v26
	v_rndne_f32_e32 v29, v26
	v_fmac_f32_e32 v28, 0xb2a5705f, v24
	v_sub_f32_e32 v26, v26, v29
	v_add_f32_e32 v26, v26, v28
	v_cvt_i32_f32_e32 v29, v29
	v_exp_f32_e32 v26, v26
	v_cmp_nlt_f32_e64 s[0:1], s95, v24
	v_readlane_b32 s59, v38, 1
	v_readlane_b32 s15, v38, 37
	v_ldexp_f32 v26, v26, v29
	v_cndmask_b32_e64 v26, 0, v26, s[0:1]
	v_cmp_ngt_f32_e64 s[0:1], s92, v24
	v_cndmask_b32_e64 v24, v7, v26, s[0:1]
	v_mul_f32_e32 v26, s59, v9
	v_readlane_b32 s60, v38, 2
	v_fmac_f32_e32 v26, s15, v13
	v_readlane_b32 s61, v38, 3
	v_fmac_f32_e32 v26, s60, v10
	v_readlane_b32 s62, v38, 4
	v_div_scale_f32 v30, vcc, 1.0, v19, 1.0
	v_fmac_f32_e32 v26, s61, v11
	v_readlane_b32 s63, v38, 5
	v_add_f32_e32 v24, 1.0, v24
	v_fmac_f32_e32 v26, s62, v12
	v_readlane_b32 s47, v38, 53
	v_div_scale_f32 v29, s[0:1], v24, v24, 1.0
	v_fmac_f32_e32 v26, s63, v8
	v_rcp_f32_e32 v28, v27
	v_add_f32_e32 v26, s47, v26
	v_mul_f32_e32 v31, 0xbfb8aa3b, v26
	v_fma_f32 v32, v26, s94, -v31
	v_rndne_f32_e32 v33, v31
	v_fmac_f32_e32 v32, 0xb2a5705f, v26
	v_sub_f32_e32 v31, v31, v33
	v_add_f32_e32 v31, v31, v32
	v_fma_f32 v32, -v27, v28, 1.0
	v_fmac_f32_e32 v28, v32, v28
	v_div_scale_f32 v32, s[0:1], 1.0, v24, 1.0
	v_exp_f32_e32 v31, v31
	v_cvt_i32_f32_e32 v33, v33
	v_cmp_nlt_f32_e64 s[2:3], s95, v26
	v_readlane_b32 s54, v39, 60
	v_readlane_b32 s14, v38, 36
	v_ldexp_f32 v31, v31, v33
	v_cndmask_b32_e64 v31, 0, v31, s[2:3]
	v_cmp_ngt_f32_e64 s[2:3], s92, v26
	v_cndmask_b32_e64 v26, v7, v31, s[2:3]
	v_mul_f32_e32 v31, v30, v28
	v_fma_f32 v33, -v27, v31, v30
	v_fmac_f32_e32 v31, v33, v28
	v_rcp_f32_e32 v33, v29
	v_fma_f32 v27, -v27, v31, v30
	v_div_fmas_f32 v27, v27, v28, v31
	v_readlane_b32 s55, v39, 61
	v_fma_f32 v28, -v29, v33, 1.0
	v_fmac_f32_e32 v33, v28, v33
	v_mul_f32_e32 v28, v32, v33
	v_fma_f32 v31, -v29, v28, v32
	v_fmac_f32_e32 v28, v31, v33
	v_mul_f32_e32 v31, s54, v9
	v_fmac_f32_e32 v31, s14, v13
	v_readlane_b32 s56, v39, 62
	v_fmac_f32_e32 v31, s55, v10
	v_readlane_b32 s57, v39, 63
	;; [unrolled: 2-line block ×4, first 2 shown]
	v_readlane_b32 s53, v39, 59
	v_fmac_f32_e32 v31, s58, v8
	s_mov_b64 s[52:53], s[68:69]
	v_add_f32_e32 v31, s46, v31
	v_fma_f32 v29, -v29, v28, v32
	s_mov_b64 s[58:59], s[74:75]
	v_mul_f32_e32 v32, 0xbfb8aa3b, v31
	v_readlane_b32 s18, v38, 40
	v_add_f32_e32 v26, 1.0, v26
	v_fma_f32 v34, v31, s94, -v32
	v_rndne_f32_e32 v35, v32
	v_mul_f32_e32 v9, s58, v9
	v_div_scale_f32 v30, s[2:3], v26, v26, 1.0
	v_fmac_f32_e32 v34, 0xb2a5705f, v31
	v_sub_f32_e32 v32, v32, v35
	v_fmac_f32_e32 v9, s18, v13
	s_mov_b64 s[60:61], s[76:77]
	v_add_f32_e32 v32, v32, v34
	v_fmac_f32_e32 v9, s59, v10
	v_exp_f32_e32 v32, v32
	v_cvt_i32_f32_e32 v34, v35
	v_fmac_f32_e32 v9, s60, v11
	s_mov_b64 s[62:63], s[78:79]
	v_fmac_f32_e32 v9, s61, v12
	v_readlane_b32 s50, v38, 56
	v_fmac_f32_e32 v9, s62, v8
	s_mov_b64 vcc, s[0:1]
	v_add_f32_e32 v8, s50, v9
	v_div_fmas_f32 v28, v29, v33, v28
	v_ldexp_f32 v29, v32, v34
	v_div_scale_f32 v33, vcc, 1.0, v26, 1.0
	v_cmp_nlt_f32_e64 s[0:1], s95, v31
	v_mul_f32_e32 v9, 0xbfb8aa3b, v8
	v_cndmask_b32_e64 v29, 0, v29, s[0:1]
	v_cmp_ngt_f32_e64 s[0:1], s92, v31
	v_fma_f32 v10, v8, s94, -v9
	v_rndne_f32_e32 v11, v9
	v_cndmask_b32_e64 v29, v7, v29, s[0:1]
	v_fmac_f32_e32 v10, 0xb2a5705f, v8
	v_sub_f32_e32 v9, v9, v11
	v_add_f32_e32 v29, 1.0, v29
	v_add_f32_e32 v9, v9, v10
	v_exp_f32_e32 v9, v9
	v_cvt_i32_f32_e32 v10, v11
	v_div_scale_f32 v11, s[0:1], v29, v29, 1.0
	v_cmp_nlt_f32_e64 s[2:3], s95, v8
	v_ldexp_f32 v9, v9, v10
	v_cndmask_b32_e64 v9, 0, v9, s[2:3]
	v_cmp_ngt_f32_e64 s[2:3], s92, v8
	v_rcp_f32_e32 v35, v30
	v_div_scale_f32 v12, s[0:1], 1.0, v29, 1.0
	v_cndmask_b32_e64 v8, v7, v9, s[2:3]
	v_add_f32_e32 v8, 1.0, v8
	v_div_scale_f32 v9, s[2:3], v8, v8, 1.0
	v_fma_f32 v32, -v30, v35, 1.0
	v_fmac_f32_e32 v35, v32, v35
	v_mul_f32_e32 v10, v33, v35
	v_fma_f32 v13, -v30, v10, v33
	v_fmac_f32_e32 v10, v13, v35
	v_div_scale_f32 v13, s[2:3], 1.0, v8, 1.0
	v_rcp_f32_e32 v31, v11
	v_fma_f32 v30, -v30, v10, v33
	v_div_fmas_f32 v10, v30, v35, v10
	s_mov_b64 vcc, s[0:1]
	v_fma_f32 v30, -v11, v31, 1.0
	v_fmac_f32_e32 v31, v30, v31
	v_mul_f32_e32 v30, v12, v31
	v_fma_f32 v32, -v11, v30, v12
	v_fmac_f32_e32 v30, v32, v31
	v_rcp_f32_e32 v32, v9
	v_fma_f32 v11, -v11, v30, v12
	v_div_fmas_f32 v11, v11, v31, v30
	s_mov_b64 vcc, s[2:3]
	v_fma_f32 v12, -v9, v32, 1.0
	v_fmac_f32_e32 v32, v12, v32
	v_mul_f32_e32 v12, v13, v32
	v_fma_f32 v30, -v9, v12, v13
	v_fmac_f32_e32 v12, v30, v32
	v_fma_f32 v9, -v9, v12, v13
	v_div_fmas_f32 v9, v9, v32, v12
	v_div_fixup_f32 v12, v27, v19, 1.0
	v_bfi_b32 v13, s33, v15, v23
	v_mul_f32_e32 v12, v12, v13
	v_div_fixup_f32 v13, v28, v24, 1.0
	v_bfi_b32 v15, s33, v20, v25
	v_mul_f32_e32 v13, v13, v15
	;; [unrolled: 3-line block ×3, first 2 shown]
	v_div_fixup_f32 v10, v11, v29, 1.0
	v_bfi_b32 v11, s33, v17, v16
	v_readlane_b32 s0, v39, 0
	v_mul_f32_e32 v11, v10, v11
	v_mov_b32_e32 v10, s35
	v_readlane_b32 s19, v38, 41
	v_div_fixup_f32 v8, v9, v8, 1.0
	v_bfi_b32 v9, s33, v14, v18
	v_mul_f32_e32 v8, v8, v9
	v_mov_b32_e32 v9, s0
	v_readlane_b32 s0, v39, 5
	v_readlane_b32 s1, v39, 6
	v_fma_f32 v14, s0, v11, v9
	v_readlane_b32 s2, v39, 7
	v_fmac_f32_e32 v14, s1, v15
	v_readlane_b32 s3, v39, 8
	v_fmac_f32_e32 v14, s2, v13
	v_fmac_f32_e32 v14, s3, v12
	v_readlane_b32 s0, v39, 9
	v_add_co_u32_e32 v9, vcc, s34, v2
	s_add_u32 s34, s34, 4
	v_fmac_f32_e32 v14, s0, v8
	v_addc_co_u32_e32 v10, vcc, v3, v10, vcc
	s_addc_u32 s35, s35, 0
	v_readlane_b32 s51, v38, 57
	s_mov_b64 s[54:55], s[70:71]
	s_mov_b64 s[56:57], s[72:73]
	;; [unrolled: 1-line block ×4, first 2 shown]
	global_store_dword v[9:10], v14, off
	s_cmp_lg_u32 s34, 0x13880
	v_mov_b32_e32 v9, v11
	v_mov_b32_e32 v10, v15
	;; [unrolled: 1-line block ×8, first 2 shown]
	v_readlane_b32 s5, v38, 27
	v_readlane_b32 s6, v38, 28
	;; [unrolled: 1-line block ×18, first 2 shown]
	s_cbranch_scc0 .LBB0_43
.LBB0_3:                                ; =>This Inner Loop Header: Depth=1
	v_mov_b32_e32 v13, s35
	v_add_co_u32_e32 v18, vcc, s34, v0
	v_addc_co_u32_e32 v19, vcc, v1, v13, vcc
	global_load_dword v13, v[18:19], off
	v_mul_f32_e32 v16, s63, v9
                                        ; implicit-def: $vgpr28
	s_waitcnt vmcnt(0)
	v_fmac_f32_e32 v16, s19, v13
	v_fmac_f32_e32 v16, s64, v10
	;; [unrolled: 1-line block ×5, first 2 shown]
	v_add_f32_e32 v16, s51, v16
	v_cmp_nlt_f32_e64 s[0:1], |v16|, s93
	s_and_saveexec_b64 s[2:3], s[0:1]
	s_xor_b64 s[0:1], exec, s[2:3]
	s_cbranch_execz .LBB0_5
; %bb.4:                                ;   in Loop: Header=BB0_3 Depth=1
	v_add_f32_e64 v18, |v16|, |v16|
	v_mul_f32_e32 v19, 0x3fb8aa3b, v18
	v_rndne_f32_e32 v21, v19
	s_mov_b32 s2, 0x3fb8aa3b
	v_sub_f32_e32 v23, v19, v21
	v_fma_f32 v19, v18, s2, -v19
	v_fmac_f32_e32 v19, 0x32a5705f, v18
	v_add_f32_e32 v19, v23, v19
	v_cvt_i32_f32_e32 v21, v21
	v_exp_f32_e32 v19, v19
	s_mov_b32 s2, 0xc2ce8ed0
	v_cmp_ngt_f32_e32 vcc, s2, v18
	s_mov_b32 s2, 0x42b17218
	v_ldexp_f32 v19, v19, v21
	v_cndmask_b32_e32 v19, 0, v19, vcc
	v_cmp_nlt_f32_e32 vcc, s2, v18
	v_cndmask_b32_e32 v18, v7, v19, vcc
	v_add_f32_e32 v18, 1.0, v18
	v_rcp_f32_e32 v18, v18
	v_fma_f32 v28, v18, -2.0, 1.0
.LBB0_5:                                ;   in Loop: Header=BB0_3 Depth=1
	s_andn2_saveexec_b64 s[0:1], s[0:1]
; %bb.6:                                ;   in Loop: Header=BB0_3 Depth=1
	v_mul_f32_e32 v18, v16, v16
	v_mov_b32_e32 v19, 0x3ca908c9
	v_fmac_f32_e32 v19, 0xbbbac73d, v18
	v_fma_f32 v19, v18, v19, v4
	v_fma_f32 v19, v18, v19, v5
	;; [unrolled: 1-line block ×3, first 2 shown]
	v_mul_f32_e64 v19, |v16|, v19
	v_fma_f32 v28, v18, v19, |v16|
; %bb.7:                                ;   in Loop: Header=BB0_3 Depth=1
	s_or_b64 exec, exec, s[0:1]
	v_readlane_b32 s0, v38, 10
	v_mul_f32_e32 v18, s0, v9
	v_readlane_b32 s1, v38, 11
	v_fmac_f32_e32 v18, s84, v13
	v_readlane_b32 s2, v38, 12
	v_fmac_f32_e32 v18, s1, v10
	;; [unrolled: 2-line block ×4, first 2 shown]
	v_fmac_f32_e32 v18, s4, v8
	v_add_f32_e32 v21, s88, v18
	v_cmp_nlt_f32_e64 s[0:1], |v21|, s93
	v_readlane_b32 s5, v38, 15
	v_readlane_b32 s6, v38, 16
	;; [unrolled: 1-line block ×11, first 2 shown]
                                        ; implicit-def: $vgpr27
	s_and_saveexec_b64 s[2:3], s[0:1]
	s_xor_b64 s[0:1], exec, s[2:3]
	s_cbranch_execz .LBB0_9
; %bb.8:                                ;   in Loop: Header=BB0_3 Depth=1
	v_add_f32_e64 v18, |v21|, |v21|
	v_mul_f32_e32 v19, 0x3fb8aa3b, v18
	v_rndne_f32_e32 v23, v19
	s_mov_b32 s2, 0x3fb8aa3b
	v_sub_f32_e32 v24, v19, v23
	v_fma_f32 v19, v18, s2, -v19
	v_fmac_f32_e32 v19, 0x32a5705f, v18
	v_add_f32_e32 v19, v24, v19
	v_cvt_i32_f32_e32 v23, v23
	v_exp_f32_e32 v19, v19
	s_mov_b32 s2, 0xc2ce8ed0
	v_cmp_ngt_f32_e32 vcc, s2, v18
	s_mov_b32 s2, 0x42b17218
	v_ldexp_f32 v19, v19, v23
	v_cndmask_b32_e32 v19, 0, v19, vcc
	v_cmp_nlt_f32_e32 vcc, s2, v18
	v_cndmask_b32_e32 v18, v7, v19, vcc
	v_add_f32_e32 v18, 1.0, v18
	v_rcp_f32_e32 v18, v18
	v_fma_f32 v27, v18, -2.0, 1.0
.LBB0_9:                                ;   in Loop: Header=BB0_3 Depth=1
	s_andn2_saveexec_b64 s[0:1], s[0:1]
; %bb.10:                               ;   in Loop: Header=BB0_3 Depth=1
	v_mul_f32_e32 v18, v21, v21
	v_mov_b32_e32 v19, 0x3ca908c9
	v_fmac_f32_e32 v19, 0xbbbac73d, v18
	v_fma_f32 v19, v18, v19, v4
	v_fma_f32 v19, v18, v19, v5
	;; [unrolled: 1-line block ×3, first 2 shown]
	v_mul_f32_e64 v19, |v21|, v19
	v_fma_f32 v27, v18, v19, |v21|
; %bb.11:                               ;   in Loop: Header=BB0_3 Depth=1
	s_or_b64 exec, exec, s[0:1]
	v_readlane_b32 s0, v38, 10
	v_readlane_b32 s5, v38, 15
	v_mul_f32_e32 v18, s5, v9
	v_readlane_b32 s6, v38, 16
	v_fmac_f32_e32 v18, s85, v13
	v_readlane_b32 s7, v38, 17
	v_fmac_f32_e32 v18, s6, v10
	;; [unrolled: 2-line block ×4, first 2 shown]
	v_fmac_f32_e32 v18, s9, v8
	v_readlane_b32 s1, v38, 11
	v_add_f32_e32 v25, s89, v18
	v_cmp_nlt_f32_e64 s[0:1], |v25|, s93
	v_readlane_b32 s2, v38, 12
	v_readlane_b32 s3, v38, 13
	v_readlane_b32 s4, v38, 14
	v_readlane_b32 s10, v38, 20
	v_readlane_b32 s11, v38, 21
	v_readlane_b32 s12, v38, 22
	v_readlane_b32 s13, v38, 23
	v_readlane_b32 s14, v38, 24
	v_readlane_b32 s15, v38, 25
                                        ; implicit-def: $vgpr26
	s_and_saveexec_b64 s[2:3], s[0:1]
	s_xor_b64 s[0:1], exec, s[2:3]
	s_cbranch_execz .LBB0_13
; %bb.12:                               ;   in Loop: Header=BB0_3 Depth=1
	v_add_f32_e64 v18, |v25|, |v25|
	v_mul_f32_e32 v19, 0x3fb8aa3b, v18
	v_rndne_f32_e32 v23, v19
	s_mov_b32 s2, 0x3fb8aa3b
	v_sub_f32_e32 v24, v19, v23
	v_fma_f32 v19, v18, s2, -v19
	v_fmac_f32_e32 v19, 0x32a5705f, v18
	v_add_f32_e32 v19, v24, v19
	v_cvt_i32_f32_e32 v23, v23
	v_exp_f32_e32 v19, v19
	s_mov_b32 s2, 0xc2ce8ed0
	v_cmp_ngt_f32_e32 vcc, s2, v18
	s_mov_b32 s2, 0x42b17218
	v_ldexp_f32 v19, v19, v23
	v_cndmask_b32_e32 v19, 0, v19, vcc
	v_cmp_nlt_f32_e32 vcc, s2, v18
	v_cndmask_b32_e32 v18, v7, v19, vcc
	v_add_f32_e32 v18, 1.0, v18
	v_rcp_f32_e32 v18, v18
	v_fma_f32 v26, v18, -2.0, 1.0
.LBB0_13:                               ;   in Loop: Header=BB0_3 Depth=1
	s_andn2_saveexec_b64 s[0:1], s[0:1]
; %bb.14:                               ;   in Loop: Header=BB0_3 Depth=1
	v_mul_f32_e32 v18, v25, v25
	v_mov_b32_e32 v19, 0x3ca908c9
	v_fmac_f32_e32 v19, 0xbbbac73d, v18
	v_fma_f32 v19, v18, v19, v4
	v_fma_f32 v19, v18, v19, v5
	v_fma_f32 v19, v18, v19, v6
	v_mul_f32_e64 v19, |v25|, v19
	v_fma_f32 v26, v18, v19, |v25|
; %bb.15:                               ;   in Loop: Header=BB0_3 Depth=1
	s_or_b64 exec, exec, s[0:1]
	v_readlane_b32 s0, v38, 10
	v_readlane_b32 s10, v38, 20
	v_mul_f32_e32 v18, s10, v9
	v_readlane_b32 s11, v38, 21
	v_fmac_f32_e32 v18, s86, v13
	v_readlane_b32 s12, v38, 22
	v_fmac_f32_e32 v18, s11, v10
	;; [unrolled: 2-line block ×4, first 2 shown]
	v_fmac_f32_e32 v18, s14, v8
	v_readlane_b32 s1, v38, 11
	v_add_f32_e32 v23, s90, v18
	v_cmp_nlt_f32_e64 s[0:1], |v23|, s93
	v_readlane_b32 s2, v38, 12
	v_readlane_b32 s3, v38, 13
	;; [unrolled: 1-line block ×9, first 2 shown]
                                        ; implicit-def: $vgpr24
	s_and_saveexec_b64 s[2:3], s[0:1]
	s_xor_b64 s[0:1], exec, s[2:3]
	s_cbranch_execz .LBB0_17
; %bb.16:                               ;   in Loop: Header=BB0_3 Depth=1
	v_add_f32_e64 v18, |v23|, |v23|
	v_mul_f32_e32 v19, 0x3fb8aa3b, v18
	v_rndne_f32_e32 v24, v19
	s_mov_b32 s2, 0x3fb8aa3b
	v_sub_f32_e32 v29, v19, v24
	v_fma_f32 v19, v18, s2, -v19
	v_fmac_f32_e32 v19, 0x32a5705f, v18
	v_add_f32_e32 v19, v29, v19
	v_cvt_i32_f32_e32 v24, v24
	v_exp_f32_e32 v19, v19
	s_mov_b32 s2, 0xc2ce8ed0
	v_cmp_ngt_f32_e32 vcc, s2, v18
	s_mov_b32 s2, 0x42b17218
	v_ldexp_f32 v19, v19, v24
	v_cndmask_b32_e32 v19, 0, v19, vcc
	v_cmp_nlt_f32_e32 vcc, s2, v18
	v_cndmask_b32_e32 v18, v7, v19, vcc
	v_add_f32_e32 v18, 1.0, v18
	v_rcp_f32_e32 v18, v18
	v_fma_f32 v24, v18, -2.0, 1.0
.LBB0_17:                               ;   in Loop: Header=BB0_3 Depth=1
	s_andn2_saveexec_b64 s[0:1], s[0:1]
; %bb.18:                               ;   in Loop: Header=BB0_3 Depth=1
	v_mul_f32_e32 v18, v23, v23
	v_mov_b32_e32 v19, 0x3ca908c9
	v_fmac_f32_e32 v19, 0xbbbac73d, v18
	v_fma_f32 v19, v18, v19, v4
	v_fma_f32 v19, v18, v19, v5
	;; [unrolled: 1-line block ×3, first 2 shown]
	v_mul_f32_e64 v19, |v23|, v19
	v_fma_f32 v24, v18, v19, |v23|
; %bb.19:                               ;   in Loop: Header=BB0_3 Depth=1
	s_or_b64 exec, exec, s[0:1]
	v_readlane_b32 s0, v38, 10
	v_readlane_b32 s15, v38, 25
	;; [unrolled: 1-line block ×5, first 2 shown]
	v_mul_f32_e32 v18, s15, v9
	v_fmac_f32_e32 v18, s87, v13
	v_readlane_b32 s0, v39, 1
	v_readlane_b32 s1, v39, 2
	v_fmac_f32_e32 v18, s0, v10
	v_readlane_b32 s2, v39, 3
	v_fmac_f32_e32 v18, s1, v11
	;; [unrolled: 2-line block ×3, first 2 shown]
	v_fmac_f32_e32 v18, s3, v8
	v_add_f32_e32 v18, s91, v18
	v_cmp_nlt_f32_e64 s[0:1], |v18|, s93
	v_readlane_b32 s4, v38, 14
	v_readlane_b32 s5, v38, 15
	;; [unrolled: 1-line block ×11, first 2 shown]
                                        ; implicit-def: $vgpr19
	s_and_saveexec_b64 s[2:3], s[0:1]
	s_xor_b64 s[0:1], exec, s[2:3]
	s_cbranch_execz .LBB0_21
; %bb.20:                               ;   in Loop: Header=BB0_3 Depth=1
	v_add_f32_e64 v19, |v18|, |v18|
	v_mul_f32_e32 v29, 0x3fb8aa3b, v19
	v_rndne_f32_e32 v30, v29
	s_mov_b32 s2, 0x3fb8aa3b
	v_sub_f32_e32 v31, v29, v30
	v_fma_f32 v29, v19, s2, -v29
	v_fmac_f32_e32 v29, 0x32a5705f, v19
	v_add_f32_e32 v29, v31, v29
	v_cvt_i32_f32_e32 v30, v30
	v_exp_f32_e32 v29, v29
	s_mov_b32 s2, 0xc2ce8ed0
	v_cmp_ngt_f32_e32 vcc, s2, v19
	s_mov_b32 s2, 0x42b17218
	v_ldexp_f32 v29, v29, v30
	v_cndmask_b32_e32 v29, 0, v29, vcc
	v_cmp_nlt_f32_e32 vcc, s2, v19
	v_cndmask_b32_e32 v19, v7, v29, vcc
	v_add_f32_e32 v19, 1.0, v19
	v_rcp_f32_e32 v19, v19
	v_fma_f32 v19, v19, -2.0, 1.0
.LBB0_21:                               ;   in Loop: Header=BB0_3 Depth=1
	s_andn2_saveexec_b64 s[0:1], s[0:1]
; %bb.22:                               ;   in Loop: Header=BB0_3 Depth=1
	v_mul_f32_e32 v19, v18, v18
	v_mov_b32_e32 v29, 0x3ca908c9
	v_fmac_f32_e32 v29, 0xbbbac73d, v19
	v_fma_f32 v29, v19, v29, v4
	v_fma_f32 v29, v19, v29, v5
	;; [unrolled: 1-line block ×3, first 2 shown]
	v_mul_f32_e64 v29, |v18|, v29
	v_fma_f32 v19, v19, v29, |v18|
; %bb.23:                               ;   in Loop: Header=BB0_3 Depth=1
	s_or_b64 exec, exec, s[0:1]
	v_readlane_b32 s16, v39, 10
	v_mul_f32_e32 v29, s16, v9
	v_readlane_b32 s0, v38, 26
	v_readlane_b32 s17, v39, 11
	v_fmac_f32_e32 v29, s0, v13
	v_readlane_b32 s18, v39, 12
	v_fmac_f32_e32 v29, s17, v10
	;; [unrolled: 2-line block ×3, first 2 shown]
	v_readlane_b32 s20, v39, 14
	v_readlane_b32 s21, v39, 15
	v_readlane_b32 s22, v39, 16
	v_readlane_b32 s23, v39, 17
	v_readlane_b32 s8, v38, 34
	v_readlane_b32 s9, v38, 35
	v_readlane_b32 s10, v38, 36
	v_readlane_b32 s11, v38, 37
	v_readlane_b32 s12, v38, 38
	v_readlane_b32 s13, v38, 39
	v_readlane_b32 s14, v38, 40
	v_readlane_b32 s15, v38, 41
	v_fmac_f32_e32 v29, s19, v12
	v_fmac_f32_e32 v29, s20, v8
	v_readlane_b32 s8, v38, 42
	v_add_f32_e32 v29, s8, v29
	v_mul_f32_e32 v30, 0xbfb8aa3b, v29
	v_fma_f32 v31, v29, s94, -v30
	v_rndne_f32_e32 v32, v30
	v_fmac_f32_e32 v31, 0xb2a5705f, v29
	v_sub_f32_e32 v30, v30, v32
	v_add_f32_e32 v30, v30, v31
	v_cvt_i32_f32_e32 v31, v32
	v_exp_f32_e32 v30, v30
	v_cmp_nlt_f32_e32 vcc, s95, v29
	v_readlane_b32 s36, v39, 26
	v_readlane_b32 s45, v39, 35
	v_ldexp_f32 v30, v30, v31
	v_cndmask_b32_e32 v30, 0, v30, vcc
	v_cmp_ngt_f32_e32 vcc, s92, v29
	v_readlane_b32 s5, v38, 31
	v_cndmask_b32_e32 v29, v7, v30, vcc
	v_mul_f32_e32 v30, s45, v9
	v_readlane_b32 s46, v39, 36
	v_fmac_f32_e32 v30, s5, v13
	v_readlane_b32 s47, v39, 37
	v_fmac_f32_e32 v30, s46, v10
	;; [unrolled: 2-line block ×5, first 2 shown]
	v_add_f32_e32 v30, s13, v30
	v_mul_f32_e32 v31, 0xbfb8aa3b, v30
	v_fma_f32 v32, v30, s94, -v31
	v_rndne_f32_e32 v33, v31
	v_fmac_f32_e32 v32, 0xb2a5705f, v30
	v_sub_f32_e32 v31, v31, v33
	v_readlane_b32 s1, v38, 27
	v_add_f32_e32 v29, 1.0, v29
	v_add_f32_e32 v31, v31, v32
	v_exp_f32_e32 v31, v31
	v_cvt_i32_f32_e32 v32, v33
	v_div_scale_f32 v33, s[0:1], v29, v29, 1.0
	v_cmp_nlt_f32_e64 s[0:1], s95, v30
	v_ldexp_f32 v31, v31, v32
	v_cndmask_b32_e64 v31, 0, v31, s[0:1]
	v_cmp_ngt_f32_e64 s[0:1], s92, v30
	v_div_scale_f32 v34, vcc, 1.0, v29, 1.0
	v_cndmask_b32_e64 v30, v7, v31, s[0:1]
	v_add_f32_e32 v30, 1.0, v30
	v_div_scale_f32 v31, s[0:1], v30, v30, 1.0
	v_div_scale_f32 v32, s[0:1], 1.0, v30, 1.0
	v_bfi_b32 v16, s33, v28, v16
	v_readlane_b32 s24, v39, 18
	v_rcp_f32_e32 v35, v33
	v_readlane_b32 s25, v39, 19
	v_readlane_b32 s26, v39, 20
	v_readlane_b32 s27, v39, 21
	v_fma_f32 v36, -v33, v35, 1.0
	v_fmac_f32_e32 v35, v36, v35
	v_mul_f32_e32 v36, v34, v35
	v_fma_f32 v37, -v33, v36, v34
	v_fmac_f32_e32 v36, v37, v35
	v_fma_f32 v33, -v33, v36, v34
	v_rcp_f32_e32 v37, v31
	v_div_fmas_f32 v33, v33, v35, v36
	s_mov_b64 vcc, s[0:1]
	v_readlane_b32 s28, v39, 22
	v_fma_f32 v34, -v31, v37, 1.0
	v_fmac_f32_e32 v37, v34, v37
	v_mul_f32_e32 v34, v32, v37
	v_fma_f32 v35, -v31, v34, v32
	v_fmac_f32_e32 v34, v35, v37
	v_fma_f32 v31, -v31, v34, v32
	v_div_fmas_f32 v31, v31, v37, v34
	v_readlane_b32 s29, v39, 23
	v_readlane_b32 s30, v39, 24
	;; [unrolled: 1-line block ×6, first 2 shown]
	v_div_fixup_f32 v28, v33, v29, 1.0
	v_mul_f32_e32 v16, v28, v16
	v_readlane_b32 s6, v38, 32
	v_readlane_b32 s7, v38, 33
	v_readlane_b32 s9, v38, 43
	v_readlane_b32 s10, v38, 44
	v_readlane_b32 s11, v38, 45
	v_readlane_b32 s12, v38, 46
	v_readlane_b32 s14, v38, 48
	v_div_fixup_f32 v29, v31, v30, 1.0
	v_fmac_f32_e32 v16, v29, v17
	v_cmp_nlt_f32_e64 s[0:1], |v16|, s93
	v_readlane_b32 s15, v38, 49
	v_readlane_b32 s16, v38, 50
	;; [unrolled: 1-line block ×19, first 2 shown]
                                        ; implicit-def: $vgpr17
	s_and_saveexec_b64 s[2:3], s[0:1]
	s_xor_b64 s[0:1], exec, s[2:3]
	s_cbranch_execz .LBB0_25
; %bb.24:                               ;   in Loop: Header=BB0_3 Depth=1
	v_add_f32_e64 v17, |v16|, |v16|
	v_mul_f32_e32 v28, 0x3fb8aa3b, v17
	v_rndne_f32_e32 v29, v28
	s_mov_b32 s2, 0x3fb8aa3b
	v_sub_f32_e32 v30, v28, v29
	v_fma_f32 v28, v17, s2, -v28
	v_fmac_f32_e32 v28, 0x32a5705f, v17
	v_add_f32_e32 v28, v30, v28
	v_cvt_i32_f32_e32 v29, v29
	v_exp_f32_e32 v28, v28
	s_mov_b32 s2, 0xc2ce8ed0
	v_cmp_ngt_f32_e32 vcc, s2, v17
	s_mov_b32 s2, 0x42b17218
	v_ldexp_f32 v28, v28, v29
	v_cndmask_b32_e32 v28, 0, v28, vcc
	v_cmp_nlt_f32_e32 vcc, s2, v17
	v_cndmask_b32_e32 v17, v7, v28, vcc
	v_add_f32_e32 v17, 1.0, v17
	v_rcp_f32_e32 v17, v17
	v_fma_f32 v17, v17, -2.0, 1.0
.LBB0_25:                               ;   in Loop: Header=BB0_3 Depth=1
	s_andn2_saveexec_b64 s[0:1], s[0:1]
; %bb.26:                               ;   in Loop: Header=BB0_3 Depth=1
	v_mul_f32_e32 v17, v16, v16
	v_mov_b32_e32 v28, 0x3ca908c9
	v_fmac_f32_e32 v28, 0xbbbac73d, v17
	v_fma_f32 v28, v17, v28, v4
	v_fma_f32 v28, v17, v28, v5
	;; [unrolled: 1-line block ×3, first 2 shown]
	v_mul_f32_e64 v28, |v16|, v28
	v_fma_f32 v17, v17, v28, |v16|
; %bb.27:                               ;   in Loop: Header=BB0_3 Depth=1
	s_or_b64 exec, exec, s[0:1]
	v_readlane_b32 s12, v39, 10
	v_readlane_b32 s13, v39, 11
	;; [unrolled: 1-line block ×6, first 2 shown]
	v_mul_f32_e32 v28, s17, v9
	v_readlane_b32 s1, v38, 27
	v_readlane_b32 s18, v39, 16
	v_fmac_f32_e32 v28, s1, v13
	v_readlane_b32 s19, v39, 17
	v_fmac_f32_e32 v28, s18, v10
	v_readlane_b32 s20, v39, 18
	v_fmac_f32_e32 v28, s19, v11
	v_readlane_b32 s16, v39, 14
	v_readlane_b32 s21, v39, 19
	;; [unrolled: 1-line block ×12, first 2 shown]
	v_fmac_f32_e32 v28, s20, v12
	v_fmac_f32_e32 v28, s21, v8
	v_readlane_b32 s8, v38, 42
	v_readlane_b32 s9, v38, 43
	v_add_f32_e32 v28, s9, v28
	v_mul_f32_e32 v29, 0xbfb8aa3b, v28
	v_fma_f32 v30, v28, s94, -v29
	v_rndne_f32_e32 v31, v29
	v_fmac_f32_e32 v30, 0xb2a5705f, v28
	v_sub_f32_e32 v29, v29, v31
	v_add_f32_e32 v29, v29, v30
	v_cvt_i32_f32_e32 v30, v31
	v_exp_f32_e32 v29, v29
	v_readlane_b32 s36, v39, 26
	v_readlane_b32 s50, v39, 40
	;; [unrolled: 1-line block ×3, first 2 shown]
	v_ldexp_f32 v29, v29, v30
	v_mul_f32_e32 v30, s50, v9
	v_readlane_b32 s24, v39, 22
	v_readlane_b32 s25, v39, 23
	;; [unrolled: 1-line block ×13, first 2 shown]
	v_fmac_f32_e32 v30, s6, v13
	v_fmac_f32_e32 v30, s51, v10
	v_readlane_b32 s16, v39, 42
	v_readlane_b32 s17, v39, 43
	v_fmac_f32_e32 v30, s16, v11
	v_readlane_b32 s18, v39, 44
	v_fmac_f32_e32 v30, s17, v12
	;; [unrolled: 2-line block ×3, first 2 shown]
	v_add_f32_e32 v30, s14, v30
	v_mul_f32_e32 v31, 0xbfb8aa3b, v30
	v_fma_f32 v32, v30, s94, -v31
	v_rndne_f32_e32 v33, v31
	v_fmac_f32_e32 v32, 0xb2a5705f, v30
	v_sub_f32_e32 v31, v31, v33
	v_add_f32_e32 v31, v31, v32
	v_exp_f32_e32 v31, v31
	v_cvt_i32_f32_e32 v32, v33
	v_cmp_nlt_f32_e32 vcc, s95, v28
	v_cndmask_b32_e32 v29, 0, v29, vcc
	v_cmp_ngt_f32_e32 vcc, s92, v28
	v_cndmask_b32_e32 v28, v7, v29, vcc
	v_add_f32_e32 v28, 1.0, v28
	v_ldexp_f32 v29, v31, v32
	v_div_scale_f32 v31, s[0:1], v28, v28, 1.0
	v_cmp_nlt_f32_e32 vcc, s95, v30
	v_cndmask_b32_e32 v29, 0, v29, vcc
	v_cmp_ngt_f32_e32 vcc, s92, v30
	v_cndmask_b32_e32 v29, v7, v29, vcc
	v_div_scale_f32 v30, vcc, 1.0, v28, 1.0
	v_add_f32_e32 v29, 1.0, v29
	v_div_scale_f32 v32, s[0:1], v29, v29, 1.0
	v_div_scale_f32 v33, s[0:1], 1.0, v29, 1.0
	v_bfi_b32 v21, s33, v27, v21
	v_readlane_b32 s2, v38, 28
	v_readlane_b32 s3, v38, 29
	v_rcp_f32_e32 v34, v31
	v_readlane_b32 s4, v38, 30
	v_readlane_b32 s5, v38, 31
	;; [unrolled: 1-line block ×3, first 2 shown]
	v_fma_f32 v35, -v31, v34, 1.0
	v_fmac_f32_e32 v34, v35, v34
	v_mul_f32_e32 v35, v30, v34
	v_fma_f32 v36, -v31, v35, v30
	v_fmac_f32_e32 v35, v36, v34
	v_rcp_f32_e32 v36, v32
	v_fma_f32 v30, -v31, v35, v30
	v_div_fmas_f32 v30, v30, v34, v35
	s_mov_b64 vcc, s[0:1]
	v_fma_f32 v31, -v32, v36, 1.0
	v_fmac_f32_e32 v36, v31, v36
	v_mul_f32_e32 v31, v33, v36
	v_fma_f32 v34, -v32, v31, v33
	v_fmac_f32_e32 v31, v34, v36
	v_fma_f32 v32, -v32, v31, v33
	v_div_fmas_f32 v31, v32, v36, v31
	v_readlane_b32 s10, v38, 44
	v_readlane_b32 s11, v38, 45
	;; [unrolled: 1-line block ×7, first 2 shown]
	v_div_fixup_f32 v27, v30, v28, 1.0
	v_mul_f32_e32 v21, v27, v21
	v_readlane_b32 s39, v39, 29
	v_readlane_b32 s40, v39, 30
	;; [unrolled: 1-line block ×6, first 2 shown]
	v_div_fixup_f32 v28, v31, v29, 1.0
	v_fmac_f32_e32 v21, v28, v22
	v_cmp_nlt_f32_e64 s[0:1], |v21|, s93
	v_readlane_b32 s45, v39, 35
	v_readlane_b32 s46, v39, 36
	;; [unrolled: 1-line block ×18, first 2 shown]
                                        ; implicit-def: $vgpr22
	s_and_saveexec_b64 s[2:3], s[0:1]
	s_xor_b64 s[0:1], exec, s[2:3]
	s_cbranch_execz .LBB0_29
; %bb.28:                               ;   in Loop: Header=BB0_3 Depth=1
	v_add_f32_e64 v22, |v21|, |v21|
	v_mul_f32_e32 v27, 0x3fb8aa3b, v22
	v_rndne_f32_e32 v28, v27
	s_mov_b32 s2, 0x3fb8aa3b
	v_sub_f32_e32 v29, v27, v28
	v_fma_f32 v27, v22, s2, -v27
	v_fmac_f32_e32 v27, 0x32a5705f, v22
	v_add_f32_e32 v27, v29, v27
	v_cvt_i32_f32_e32 v28, v28
	v_exp_f32_e32 v27, v27
	s_mov_b32 s2, 0xc2ce8ed0
	v_cmp_ngt_f32_e32 vcc, s2, v22
	s_mov_b32 s2, 0x42b17218
	v_ldexp_f32 v27, v27, v28
	v_cndmask_b32_e32 v27, 0, v27, vcc
	v_cmp_nlt_f32_e32 vcc, s2, v22
	v_cndmask_b32_e32 v22, v7, v27, vcc
	v_add_f32_e32 v22, 1.0, v22
	v_rcp_f32_e32 v22, v22
	v_fma_f32 v22, v22, -2.0, 1.0
.LBB0_29:                               ;   in Loop: Header=BB0_3 Depth=1
	s_andn2_saveexec_b64 s[0:1], s[0:1]
; %bb.30:                               ;   in Loop: Header=BB0_3 Depth=1
	v_mul_f32_e32 v22, v21, v21
	v_mov_b32_e32 v27, 0x3ca908c9
	v_fmac_f32_e32 v27, 0xbbbac73d, v22
	v_fma_f32 v27, v22, v27, v4
	v_fma_f32 v27, v22, v27, v5
	;; [unrolled: 1-line block ×3, first 2 shown]
	v_mul_f32_e64 v27, |v21|, v27
	v_fma_f32 v22, v22, v27, |v21|
; %bb.31:                               ;   in Loop: Header=BB0_3 Depth=1
	s_or_b64 exec, exec, s[0:1]
	v_readlane_b32 s8, v39, 10
	v_readlane_b32 s9, v39, 11
	v_readlane_b32 s10, v39, 12
	v_readlane_b32 s11, v39, 13
	v_readlane_b32 s12, v39, 14
	v_readlane_b32 s13, v39, 15
	v_readlane_b32 s14, v39, 16
	v_readlane_b32 s15, v39, 17
	v_readlane_b32 s18, v39, 20
	v_readlane_b32 s0, v38, 26
	v_mul_f32_e32 v27, s18, v9
	v_readlane_b32 s2, v38, 28
	v_readlane_b32 s19, v39, 21
	v_fmac_f32_e32 v27, s2, v13
	v_readlane_b32 s20, v39, 22
	v_fmac_f32_e32 v27, s19, v10
	;; [unrolled: 2-line block ×3, first 2 shown]
	v_readlane_b32 s16, v39, 18
	v_readlane_b32 s17, v39, 19
	;; [unrolled: 1-line block ×12, first 2 shown]
	v_fmac_f32_e32 v27, s21, v12
	v_fmac_f32_e32 v27, s22, v8
	v_readlane_b32 s8, v38, 42
	v_readlane_b32 s10, v38, 44
	v_add_f32_e32 v27, s10, v27
	v_mul_f32_e32 v28, 0xbfb8aa3b, v27
	v_fma_f32 v29, v27, s94, -v28
	v_rndne_f32_e32 v30, v28
	v_fmac_f32_e32 v29, 0xb2a5705f, v27
	v_sub_f32_e32 v28, v28, v30
	v_add_f32_e32 v28, v28, v29
	v_cvt_i32_f32_e32 v29, v30
	v_exp_f32_e32 v28, v28
	v_cmp_nlt_f32_e32 vcc, s95, v27
	v_readlane_b32 s36, v39, 42
	v_readlane_b32 s39, v39, 45
	v_ldexp_f32 v28, v28, v29
	v_cndmask_b32_e32 v28, 0, v28, vcc
	v_cmp_ngt_f32_e32 vcc, s92, v27
	v_readlane_b32 s7, v38, 33
	v_cndmask_b32_e32 v27, v7, v28, vcc
	v_mul_f32_e32 v28, s39, v9
	v_readlane_b32 s40, v39, 46
	v_fmac_f32_e32 v28, s7, v13
	v_readlane_b32 s41, v39, 47
	v_fmac_f32_e32 v28, s40, v10
	;; [unrolled: 2-line block ×5, first 2 shown]
	v_add_f32_e32 v28, s15, v28
	v_mul_f32_e32 v29, 0xbfb8aa3b, v28
	v_fma_f32 v30, v28, s94, -v29
	v_rndne_f32_e32 v31, v29
	v_fmac_f32_e32 v30, 0xb2a5705f, v28
	v_sub_f32_e32 v29, v29, v31
	v_readlane_b32 s1, v38, 27
	v_add_f32_e32 v27, 1.0, v27
	v_add_f32_e32 v29, v29, v30
	v_exp_f32_e32 v29, v29
	v_cvt_i32_f32_e32 v30, v31
	v_div_scale_f32 v31, s[0:1], v27, v27, 1.0
	v_cmp_nlt_f32_e64 s[0:1], s95, v28
	v_ldexp_f32 v29, v29, v30
	v_cndmask_b32_e64 v29, 0, v29, s[0:1]
	v_cmp_ngt_f32_e64 s[0:1], s92, v28
	v_div_scale_f32 v32, vcc, 1.0, v27, 1.0
	v_cndmask_b32_e64 v28, v7, v29, s[0:1]
	v_add_f32_e32 v28, 1.0, v28
	v_div_scale_f32 v29, s[0:1], v28, v28, 1.0
	v_div_scale_f32 v30, s[0:1], 1.0, v28, 1.0
	v_bfi_b32 v25, s33, v26, v25
	v_readlane_b32 s3, v38, 29
	v_rcp_f32_e32 v33, v31
	v_readlane_b32 s4, v38, 30
	v_readlane_b32 s5, v38, 31
	;; [unrolled: 1-line block ×3, first 2 shown]
	v_fma_f32 v34, -v31, v33, 1.0
	v_fmac_f32_e32 v33, v34, v33
	v_mul_f32_e32 v34, v32, v33
	v_fma_f32 v35, -v31, v34, v32
	v_fmac_f32_e32 v34, v35, v33
	v_fma_f32 v31, -v31, v34, v32
	v_rcp_f32_e32 v35, v29
	v_div_fmas_f32 v31, v31, v33, v34
	s_mov_b64 vcc, s[0:1]
	v_readlane_b32 s9, v38, 43
	v_fma_f32 v32, -v29, v35, 1.0
	v_fmac_f32_e32 v35, v32, v35
	v_mul_f32_e32 v32, v30, v35
	v_fma_f32 v33, -v29, v32, v30
	v_fmac_f32_e32 v32, v33, v35
	v_fma_f32 v29, -v29, v32, v30
	v_div_fmas_f32 v29, v29, v35, v32
	v_readlane_b32 s11, v38, 45
	v_readlane_b32 s12, v38, 46
	;; [unrolled: 1-line block ×6, first 2 shown]
	v_div_fixup_f32 v26, v31, v27, 1.0
	v_mul_f32_e32 v25, v26, v25
	v_readlane_b32 s18, v38, 52
	v_readlane_b32 s19, v38, 53
	v_readlane_b32 s20, v38, 54
	v_readlane_b32 s21, v38, 55
	v_readlane_b32 s22, v38, 56
	v_readlane_b32 s23, v38, 57
	v_readlane_b32 s37, v39, 43
	v_div_fixup_f32 v27, v29, v28, 1.0
	v_fmac_f32_e32 v25, v27, v20
	v_cmp_nlt_f32_e64 s[0:1], |v25|, s93
	v_readlane_b32 s38, v39, 44
	v_readlane_b32 s44, v39, 50
	;; [unrolled: 1-line block ×9, first 2 shown]
                                        ; implicit-def: $vgpr20
	s_and_saveexec_b64 s[2:3], s[0:1]
	s_xor_b64 s[0:1], exec, s[2:3]
	s_cbranch_execz .LBB0_33
; %bb.32:                               ;   in Loop: Header=BB0_3 Depth=1
	v_add_f32_e64 v20, |v25|, |v25|
	v_mul_f32_e32 v26, 0x3fb8aa3b, v20
	v_rndne_f32_e32 v27, v26
	s_mov_b32 s2, 0x3fb8aa3b
	v_sub_f32_e32 v28, v26, v27
	v_fma_f32 v26, v20, s2, -v26
	v_fmac_f32_e32 v26, 0x32a5705f, v20
	v_add_f32_e32 v26, v28, v26
	v_cvt_i32_f32_e32 v27, v27
	v_exp_f32_e32 v26, v26
	s_mov_b32 s2, 0xc2ce8ed0
	v_cmp_ngt_f32_e32 vcc, s2, v20
	s_mov_b32 s2, 0x42b17218
	v_ldexp_f32 v26, v26, v27
	v_cndmask_b32_e32 v26, 0, v26, vcc
	v_cmp_nlt_f32_e32 vcc, s2, v20
	v_cndmask_b32_e32 v20, v7, v26, vcc
	v_add_f32_e32 v20, 1.0, v20
	v_rcp_f32_e32 v20, v20
	v_fma_f32 v20, v20, -2.0, 1.0
.LBB0_33:                               ;   in Loop: Header=BB0_3 Depth=1
	s_andn2_saveexec_b64 s[0:1], s[0:1]
; %bb.34:                               ;   in Loop: Header=BB0_3 Depth=1
	v_mul_f32_e32 v20, v25, v25
	v_mov_b32_e32 v26, 0x3ca908c9
	v_fmac_f32_e32 v26, 0xbbbac73d, v20
	v_fma_f32 v26, v20, v26, v4
	v_fma_f32 v26, v20, v26, v5
	;; [unrolled: 1-line block ×3, first 2 shown]
	v_mul_f32_e64 v26, |v25|, v26
	v_fma_f32 v20, v20, v26, |v25|
; %bb.35:                               ;   in Loop: Header=BB0_3 Depth=1
	s_or_b64 exec, exec, s[0:1]
	v_readlane_b32 s0, v39, 10
	v_readlane_b32 s1, v39, 11
	;; [unrolled: 1-line block ×16, first 2 shown]
	v_mul_f32_e32 v26, s15, v9
	v_readlane_b32 s0, v38, 26
	v_readlane_b32 s3, v38, 29
	;; [unrolled: 1-line block ×6, first 2 shown]
	v_fmac_f32_e32 v26, s3, v13
	v_readlane_b32 s12, v39, 26
	v_readlane_b32 s13, v39, 27
	v_fmac_f32_e32 v26, s12, v10
	v_readlane_b32 s14, v39, 28
	v_fmac_f32_e32 v26, s13, v11
	v_readlane_b32 s15, v39, 29
	v_readlane_b32 s16, v39, 30
	;; [unrolled: 1-line block ×13, first 2 shown]
	v_fmac_f32_e32 v26, s14, v12
	v_fmac_f32_e32 v26, s15, v8
	v_readlane_b32 s12, v38, 42
	v_readlane_b32 s15, v38, 45
	v_add_f32_e32 v26, s15, v26
	v_mul_f32_e32 v27, 0xbfb8aa3b, v26
	v_fma_f32 v28, v26, s94, -v27
	v_rndne_f32_e32 v29, v27
	v_fmac_f32_e32 v28, 0xb2a5705f, v26
	v_sub_f32_e32 v27, v27, v29
	v_add_f32_e32 v27, v27, v28
	v_cvt_i32_f32_e32 v28, v29
	v_exp_f32_e32 v27, v27
	v_readlane_b32 s36, v39, 42
	v_readlane_b32 s44, v39, 50
	;; [unrolled: 1-line block ×3, first 2 shown]
	v_ldexp_f32 v27, v27, v28
	v_mul_f32_e32 v28, s44, v9
	v_readlane_b32 s45, v39, 51
	v_fmac_f32_e32 v28, s8, v13
	v_readlane_b32 s46, v39, 52
	v_fmac_f32_e32 v28, s45, v10
	;; [unrolled: 2-line block ×5, first 2 shown]
	v_add_f32_e32 v28, s20, v28
	v_mul_f32_e32 v29, 0xbfb8aa3b, v28
	v_fma_f32 v30, v28, s94, -v29
	v_rndne_f32_e32 v31, v29
	v_fmac_f32_e32 v30, 0xb2a5705f, v28
	v_sub_f32_e32 v29, v29, v31
	v_add_f32_e32 v29, v29, v30
	v_exp_f32_e32 v29, v29
	v_cvt_i32_f32_e32 v30, v31
	v_cmp_nlt_f32_e32 vcc, s95, v26
	v_cndmask_b32_e32 v27, 0, v27, vcc
	v_cmp_ngt_f32_e32 vcc, s92, v26
	v_cndmask_b32_e32 v26, v7, v27, vcc
	v_readlane_b32 s1, v38, 27
	v_add_f32_e32 v26, 1.0, v26
	v_ldexp_f32 v27, v29, v30
	v_div_scale_f32 v29, s[0:1], v26, v26, 1.0
	v_cmp_nlt_f32_e32 vcc, s95, v28
	v_cndmask_b32_e32 v27, 0, v27, vcc
	v_cmp_ngt_f32_e32 vcc, s92, v28
	v_cndmask_b32_e32 v27, v7, v27, vcc
	v_div_scale_f32 v28, vcc, 1.0, v26, 1.0
	v_add_f32_e32 v27, 1.0, v27
	v_div_scale_f32 v30, s[0:1], v27, v27, 1.0
	v_div_scale_f32 v31, s[0:1], 1.0, v27, 1.0
	v_bfi_b32 v23, s33, v24, v23
	v_readlane_b32 s2, v38, 28
	v_readlane_b32 s4, v38, 30
	v_rcp_f32_e32 v32, v29
	v_readlane_b32 s5, v38, 31
	v_readlane_b32 s6, v38, 32
	;; [unrolled: 1-line block ×3, first 2 shown]
	v_fma_f32 v33, -v29, v32, 1.0
	v_fmac_f32_e32 v32, v33, v32
	v_mul_f32_e32 v33, v28, v32
	v_fma_f32 v34, -v29, v33, v28
	v_fmac_f32_e32 v33, v34, v32
	v_rcp_f32_e32 v34, v30
	v_fma_f32 v28, -v29, v33, v28
	v_div_fmas_f32 v28, v28, v32, v33
	s_mov_b64 vcc, s[0:1]
	v_fma_f32 v29, -v30, v34, 1.0
	v_fmac_f32_e32 v34, v29, v34
	v_mul_f32_e32 v29, v31, v34
	v_fma_f32 v32, -v30, v29, v31
	v_fmac_f32_e32 v29, v32, v34
	v_fma_f32 v30, -v30, v29, v31
	v_div_fmas_f32 v29, v30, v34, v29
	v_readlane_b32 s9, v38, 35
	v_readlane_b32 s10, v38, 36
	v_readlane_b32 s11, v38, 37
	v_readlane_b32 s13, v38, 43
	v_readlane_b32 s14, v38, 44
	v_readlane_b32 s16, v38, 46
	v_readlane_b32 s17, v38, 47
	v_div_fixup_f32 v24, v28, v26, 1.0
	v_mul_f32_e32 v23, v24, v23
	v_readlane_b32 s18, v38, 48
	v_readlane_b32 s19, v38, 49
	;; [unrolled: 1-line block ×6, first 2 shown]
	v_div_fixup_f32 v26, v29, v27, 1.0
	v_fmac_f32_e32 v23, v26, v15
	v_cmp_nlt_f32_e64 s[0:1], |v23|, s93
	v_readlane_b32 s25, v38, 55
	v_readlane_b32 s26, v38, 56
	;; [unrolled: 1-line block ×13, first 2 shown]
                                        ; implicit-def: $vgpr15
	s_and_saveexec_b64 s[2:3], s[0:1]
	s_xor_b64 s[0:1], exec, s[2:3]
	s_cbranch_execz .LBB0_37
; %bb.36:                               ;   in Loop: Header=BB0_3 Depth=1
	v_add_f32_e64 v15, |v23|, |v23|
	v_mul_f32_e32 v24, 0x3fb8aa3b, v15
	v_rndne_f32_e32 v26, v24
	s_mov_b32 s2, 0x3fb8aa3b
	v_sub_f32_e32 v27, v24, v26
	v_fma_f32 v24, v15, s2, -v24
	v_fmac_f32_e32 v24, 0x32a5705f, v15
	v_add_f32_e32 v24, v27, v24
	v_cvt_i32_f32_e32 v26, v26
	v_exp_f32_e32 v24, v24
	s_mov_b32 s2, 0xc2ce8ed0
	v_cmp_ngt_f32_e32 vcc, s2, v15
	s_mov_b32 s2, 0x42b17218
	v_ldexp_f32 v24, v24, v26
	v_cndmask_b32_e32 v24, 0, v24, vcc
	v_cmp_nlt_f32_e32 vcc, s2, v15
	v_cndmask_b32_e32 v15, v7, v24, vcc
	v_add_f32_e32 v15, 1.0, v15
	v_rcp_f32_e32 v15, v15
	v_fma_f32 v15, v15, -2.0, 1.0
.LBB0_37:                               ;   in Loop: Header=BB0_3 Depth=1
	s_andn2_saveexec_b64 s[0:1], s[0:1]
; %bb.38:                               ;   in Loop: Header=BB0_3 Depth=1
	v_mul_f32_e32 v15, v23, v23
	v_mov_b32_e32 v24, 0x3ca908c9
	v_fmac_f32_e32 v24, 0xbbbac73d, v15
	v_fma_f32 v24, v15, v24, v4
	v_fma_f32 v24, v15, v24, v5
	;; [unrolled: 1-line block ×3, first 2 shown]
	v_mul_f32_e64 v24, |v23|, v24
	v_fma_f32 v15, v15, v24, |v23|
; %bb.39:                               ;   in Loop: Header=BB0_3 Depth=1
	s_or_b64 exec, exec, s[0:1]
	v_readlane_b32 s12, v39, 26
	v_readlane_b32 s13, v39, 27
	;; [unrolled: 1-line block ×6, first 2 shown]
	v_mul_f32_e32 v24, s16, v9
	v_readlane_b32 s4, v38, 30
	v_readlane_b32 s17, v39, 31
	v_fmac_f32_e32 v24, s4, v13
	v_readlane_b32 s18, v39, 32
	v_fmac_f32_e32 v24, s17, v10
	;; [unrolled: 2-line block ×3, first 2 shown]
	v_readlane_b32 s20, v39, 34
	v_readlane_b32 s21, v39, 35
	;; [unrolled: 1-line block ×12, first 2 shown]
	v_fmac_f32_e32 v24, s19, v12
	v_fmac_f32_e32 v24, s20, v8
	v_readlane_b32 s12, v38, 42
	v_readlane_b32 s16, v38, 46
	v_add_f32_e32 v24, s16, v24
	v_mul_f32_e32 v26, 0xbfb8aa3b, v24
	v_fma_f32 v27, v24, s94, -v26
	v_rndne_f32_e32 v28, v26
	v_fmac_f32_e32 v27, 0xb2a5705f, v24
	v_sub_f32_e32 v26, v26, v28
	v_add_f32_e32 v26, v26, v27
	v_cvt_i32_f32_e32 v27, v28
	v_exp_f32_e32 v26, v26
	v_readlane_b32 s36, v39, 42
	v_readlane_b32 s49, v39, 55
	v_readlane_b32 s9, v38, 35
	v_ldexp_f32 v26, v26, v27
	v_mul_f32_e32 v27, s49, v9
	v_readlane_b32 s50, v39, 56
	v_fmac_f32_e32 v27, s9, v13
	v_readlane_b32 s1, v38, 27
	v_readlane_b32 s2, v38, 28
	;; [unrolled: 1-line block ×13, first 2 shown]
	v_fmac_f32_e32 v27, s50, v10
	v_fmac_f32_e32 v27, s51, v11
	v_readlane_b32 s0, v39, 58
	v_readlane_b32 s1, v39, 59
	v_fmac_f32_e32 v27, s0, v12
	v_readlane_b32 s21, v38, 51
	v_fmac_f32_e32 v27, s1, v8
	v_add_f32_e32 v27, s21, v27
	v_mul_f32_e32 v28, 0xbfb8aa3b, v27
	v_fma_f32 v29, v27, s94, -v28
	v_rndne_f32_e32 v30, v28
	v_fmac_f32_e32 v29, 0xb2a5705f, v27
	v_sub_f32_e32 v28, v28, v30
	v_add_f32_e32 v28, v28, v29
	v_exp_f32_e32 v28, v28
	v_cvt_i32_f32_e32 v29, v30
	v_cmp_nlt_f32_e32 vcc, s95, v24
	v_cndmask_b32_e32 v26, 0, v26, vcc
	v_cmp_ngt_f32_e32 vcc, s92, v24
	v_cndmask_b32_e32 v24, v7, v26, vcc
	v_add_f32_e32 v24, 1.0, v24
	v_ldexp_f32 v26, v28, v29
	v_div_scale_f32 v28, s[0:1], v24, v24, 1.0
	v_cmp_nlt_f32_e32 vcc, s95, v27
	v_cndmask_b32_e32 v26, 0, v26, vcc
	v_cmp_ngt_f32_e32 vcc, s92, v27
	v_cndmask_b32_e32 v26, v7, v26, vcc
	v_div_scale_f32 v27, vcc, 1.0, v24, 1.0
	v_add_f32_e32 v26, 1.0, v26
	v_div_scale_f32 v29, s[0:1], v26, v26, 1.0
	v_div_scale_f32 v30, s[0:1], 1.0, v26, 1.0
	v_bfi_b32 v18, s33, v19, v18
	v_readlane_b32 s17, v38, 47
	v_readlane_b32 s18, v38, 48
	v_rcp_f32_e32 v31, v28
	v_readlane_b32 s19, v38, 49
	v_readlane_b32 s20, v38, 50
	;; [unrolled: 1-line block ×3, first 2 shown]
	v_fma_f32 v32, -v28, v31, 1.0
	v_fmac_f32_e32 v31, v32, v31
	v_mul_f32_e32 v32, v27, v31
	v_fma_f32 v33, -v28, v32, v27
	v_fmac_f32_e32 v32, v33, v31
	v_rcp_f32_e32 v33, v29
	v_fma_f32 v27, -v28, v32, v27
	v_div_fmas_f32 v27, v27, v31, v32
	s_mov_b64 vcc, s[0:1]
	v_fma_f32 v28, -v29, v33, 1.0
	v_fmac_f32_e32 v33, v28, v33
	v_mul_f32_e32 v28, v30, v33
	v_fma_f32 v31, -v29, v28, v30
	v_fmac_f32_e32 v28, v31, v33
	v_fma_f32 v29, -v29, v28, v30
	v_div_fmas_f32 v28, v29, v33, v28
	v_readlane_b32 s23, v38, 53
	v_readlane_b32 s24, v38, 54
	v_readlane_b32 s25, v38, 55
	v_readlane_b32 s26, v38, 56
	v_readlane_b32 s27, v38, 57
	v_readlane_b32 s37, v39, 43
	v_readlane_b32 s38, v39, 44
	v_div_fixup_f32 v19, v27, v24, 1.0
	v_mul_f32_e32 v18, v19, v18
	v_readlane_b32 s39, v39, 45
	v_readlane_b32 s40, v39, 46
	;; [unrolled: 1-line block ×6, first 2 shown]
	v_div_fixup_f32 v24, v28, v26, 1.0
	v_fmac_f32_e32 v18, v24, v14
	v_cmp_nlt_f32_e64 s[0:1], |v18|, s93
	v_readlane_b32 s45, v39, 51
	v_readlane_b32 s46, v39, 52
	;; [unrolled: 1-line block ×18, first 2 shown]
                                        ; implicit-def: $vgpr14
	s_and_saveexec_b64 s[2:3], s[0:1]
	s_xor_b64 s[0:1], exec, s[2:3]
	s_cbranch_execz .LBB0_41
; %bb.40:                               ;   in Loop: Header=BB0_3 Depth=1
	v_add_f32_e64 v14, |v18|, |v18|
	v_mul_f32_e32 v19, 0x3fb8aa3b, v14
	v_rndne_f32_e32 v24, v19
	s_mov_b32 s2, 0x3fb8aa3b
	v_sub_f32_e32 v26, v19, v24
	v_fma_f32 v19, v14, s2, -v19
	v_fmac_f32_e32 v19, 0x32a5705f, v14
	v_add_f32_e32 v19, v26, v19
	v_cvt_i32_f32_e32 v24, v24
	v_exp_f32_e32 v19, v19
	s_mov_b32 s2, 0xc2ce8ed0
	v_cmp_ngt_f32_e32 vcc, s2, v14
	s_mov_b32 s2, 0x42b17218
	v_ldexp_f32 v19, v19, v24
	v_cndmask_b32_e32 v19, 0, v19, vcc
	v_cmp_nlt_f32_e32 vcc, s2, v14
	v_cndmask_b32_e32 v14, v7, v19, vcc
	v_add_f32_e32 v14, 1.0, v14
	v_rcp_f32_e32 v14, v14
	v_fma_f32 v14, v14, -2.0, 1.0
.LBB0_41:                               ;   in Loop: Header=BB0_3 Depth=1
	s_andn2_saveexec_b64 s[0:1], s[0:1]
	s_cbranch_execz .LBB0_2
; %bb.42:                               ;   in Loop: Header=BB0_3 Depth=1
	v_mul_f32_e32 v14, v18, v18
	v_mov_b32_e32 v19, 0x3ca908c9
	v_fmac_f32_e32 v19, 0xbbbac73d, v14
	v_fma_f32 v19, v14, v19, v4
	v_fma_f32 v19, v14, v19, v5
	;; [unrolled: 1-line block ×3, first 2 shown]
	v_mul_f32_e64 v19, |v18|, v19
	v_fma_f32 v14, v14, v19, |v18|
	s_branch .LBB0_2
.LBB0_43:
	s_endpgm
	.section	.rodata,"a",@progbits
	.p2align	6, 0x0
	.amdhsa_kernel _Z14lstm_inferencePKfS0_S0_S0_S0_S0_Pf
		.amdhsa_group_segment_fixed_size 0
		.amdhsa_private_segment_fixed_size 0
		.amdhsa_kernarg_size 312
		.amdhsa_user_sgpr_count 6
		.amdhsa_user_sgpr_private_segment_buffer 1
		.amdhsa_user_sgpr_dispatch_ptr 0
		.amdhsa_user_sgpr_queue_ptr 0
		.amdhsa_user_sgpr_kernarg_segment_ptr 1
		.amdhsa_user_sgpr_dispatch_id 0
		.amdhsa_user_sgpr_flat_scratch_init 0
		.amdhsa_user_sgpr_private_segment_size 0
		.amdhsa_uses_dynamic_stack 0
		.amdhsa_system_sgpr_private_segment_wavefront_offset 0
		.amdhsa_system_sgpr_workgroup_id_x 1
		.amdhsa_system_sgpr_workgroup_id_y 0
		.amdhsa_system_sgpr_workgroup_id_z 0
		.amdhsa_system_sgpr_workgroup_info 0
		.amdhsa_system_vgpr_workitem_id 0
		.amdhsa_next_free_vgpr 40
		.amdhsa_next_free_sgpr 96
		.amdhsa_reserve_vcc 1
		.amdhsa_reserve_flat_scratch 0
		.amdhsa_float_round_mode_32 0
		.amdhsa_float_round_mode_16_64 0
		.amdhsa_float_denorm_mode_32 3
		.amdhsa_float_denorm_mode_16_64 3
		.amdhsa_dx10_clamp 1
		.amdhsa_ieee_mode 1
		.amdhsa_fp16_overflow 0
		.amdhsa_exception_fp_ieee_invalid_op 0
		.amdhsa_exception_fp_denorm_src 0
		.amdhsa_exception_fp_ieee_div_zero 0
		.amdhsa_exception_fp_ieee_overflow 0
		.amdhsa_exception_fp_ieee_underflow 0
		.amdhsa_exception_fp_ieee_inexact 0
		.amdhsa_exception_int_div_zero 0
	.end_amdhsa_kernel
	.text
.Lfunc_end0:
	.size	_Z14lstm_inferencePKfS0_S0_S0_S0_S0_Pf, .Lfunc_end0-_Z14lstm_inferencePKfS0_S0_S0_S0_S0_Pf
                                        ; -- End function
	.set _Z14lstm_inferencePKfS0_S0_S0_S0_S0_Pf.num_vgpr, 40
	.set _Z14lstm_inferencePKfS0_S0_S0_S0_S0_Pf.num_agpr, 0
	.set _Z14lstm_inferencePKfS0_S0_S0_S0_S0_Pf.numbered_sgpr, 96
	.set _Z14lstm_inferencePKfS0_S0_S0_S0_S0_Pf.num_named_barrier, 0
	.set _Z14lstm_inferencePKfS0_S0_S0_S0_S0_Pf.private_seg_size, 0
	.set _Z14lstm_inferencePKfS0_S0_S0_S0_S0_Pf.uses_vcc, 1
	.set _Z14lstm_inferencePKfS0_S0_S0_S0_S0_Pf.uses_flat_scratch, 0
	.set _Z14lstm_inferencePKfS0_S0_S0_S0_S0_Pf.has_dyn_sized_stack, 0
	.set _Z14lstm_inferencePKfS0_S0_S0_S0_S0_Pf.has_recursion, 0
	.set _Z14lstm_inferencePKfS0_S0_S0_S0_S0_Pf.has_indirect_call, 0
	.section	.AMDGPU.csdata,"",@progbits
; Kernel info:
; codeLenInByte = 10504
; TotalNumSgprs: 100
; NumVgprs: 40
; ScratchSize: 0
; MemoryBound: 1
; FloatMode: 240
; IeeeMode: 1
; LDSByteSize: 0 bytes/workgroup (compile time only)
; SGPRBlocks: 12
; VGPRBlocks: 9
; NumSGPRsForWavesPerEU: 100
; NumVGPRsForWavesPerEU: 40
; Occupancy: 6
; WaveLimiterHint : 0
; COMPUTE_PGM_RSRC2:SCRATCH_EN: 0
; COMPUTE_PGM_RSRC2:USER_SGPR: 6
; COMPUTE_PGM_RSRC2:TRAP_HANDLER: 0
; COMPUTE_PGM_RSRC2:TGID_X_EN: 1
; COMPUTE_PGM_RSRC2:TGID_Y_EN: 0
; COMPUTE_PGM_RSRC2:TGID_Z_EN: 0
; COMPUTE_PGM_RSRC2:TIDIG_COMP_CNT: 0
	.section	.AMDGPU.gpr_maximums,"",@progbits
	.set amdgpu.max_num_vgpr, 0
	.set amdgpu.max_num_agpr, 0
	.set amdgpu.max_num_sgpr, 0
	.section	.AMDGPU.csdata,"",@progbits
	.type	__hip_cuid_3970a9f966b39f32,@object ; @__hip_cuid_3970a9f966b39f32
	.section	.bss,"aw",@nobits
	.globl	__hip_cuid_3970a9f966b39f32
__hip_cuid_3970a9f966b39f32:
	.byte	0                               ; 0x0
	.size	__hip_cuid_3970a9f966b39f32, 1

	.ident	"AMD clang version 22.0.0git (https://github.com/RadeonOpenCompute/llvm-project roc-7.2.4 26084 f58b06dce1f9c15707c5f808fd002e18c2accf7e)"
	.section	".note.GNU-stack","",@progbits
	.addrsig
	.addrsig_sym __hip_cuid_3970a9f966b39f32
	.amdgpu_metadata
---
amdhsa.kernels:
  - .args:
      - .actual_access:  read_only
        .address_space:  global
        .offset:         0
        .size:           8
        .value_kind:     global_buffer
      - .actual_access:  read_only
        .address_space:  global
        .offset:         8
        .size:           8
        .value_kind:     global_buffer
      - .actual_access:  read_only
        .address_space:  global
        .offset:         16
        .size:           8
        .value_kind:     global_buffer
      - .actual_access:  read_only
        .address_space:  global
        .offset:         24
        .size:           8
        .value_kind:     global_buffer
      - .actual_access:  read_only
        .address_space:  global
        .offset:         32
        .size:           8
        .value_kind:     global_buffer
      - .actual_access:  read_only
        .address_space:  global
        .offset:         40
        .size:           8
        .value_kind:     global_buffer
      - .actual_access:  write_only
        .address_space:  global
        .offset:         48
        .size:           8
        .value_kind:     global_buffer
      - .offset:         56
        .size:           4
        .value_kind:     hidden_block_count_x
      - .offset:         60
        .size:           4
        .value_kind:     hidden_block_count_y
      - .offset:         64
        .size:           4
        .value_kind:     hidden_block_count_z
      - .offset:         68
        .size:           2
        .value_kind:     hidden_group_size_x
      - .offset:         70
        .size:           2
        .value_kind:     hidden_group_size_y
      - .offset:         72
        .size:           2
        .value_kind:     hidden_group_size_z
      - .offset:         74
        .size:           2
        .value_kind:     hidden_remainder_x
      - .offset:         76
        .size:           2
        .value_kind:     hidden_remainder_y
      - .offset:         78
        .size:           2
        .value_kind:     hidden_remainder_z
      - .offset:         96
        .size:           8
        .value_kind:     hidden_global_offset_x
      - .offset:         104
        .size:           8
        .value_kind:     hidden_global_offset_y
      - .offset:         112
        .size:           8
        .value_kind:     hidden_global_offset_z
      - .offset:         120
        .size:           2
        .value_kind:     hidden_grid_dims
    .group_segment_fixed_size: 0
    .kernarg_segment_align: 8
    .kernarg_segment_size: 312
    .language:       OpenCL C
    .language_version:
      - 2
      - 0
    .max_flat_workgroup_size: 1024
    .name:           _Z14lstm_inferencePKfS0_S0_S0_S0_S0_Pf
    .private_segment_fixed_size: 0
    .sgpr_count:     100
    .sgpr_spill_count: 122
    .symbol:         _Z14lstm_inferencePKfS0_S0_S0_S0_S0_Pf.kd
    .uniform_work_group_size: 1
    .uses_dynamic_stack: false
    .vgpr_count:     40
    .vgpr_spill_count: 0
    .wavefront_size: 64
amdhsa.target:   amdgcn-amd-amdhsa--gfx906
amdhsa.version:
  - 1
  - 2
...

	.end_amdgpu_metadata
